;; amdgpu-corpus repo=ROCm/rocFFT kind=compiled arch=gfx1030 opt=O3
	.text
	.amdgcn_target "amdgcn-amd-amdhsa--gfx1030"
	.amdhsa_code_object_version 6
	.protected	fft_rtc_back_len2916_factors_6_6_3_3_3_3_wgs_243_tpt_243_halfLds_half_op_CI_CI_unitstride_sbrr_dirReg ; -- Begin function fft_rtc_back_len2916_factors_6_6_3_3_3_3_wgs_243_tpt_243_halfLds_half_op_CI_CI_unitstride_sbrr_dirReg
	.globl	fft_rtc_back_len2916_factors_6_6_3_3_3_3_wgs_243_tpt_243_halfLds_half_op_CI_CI_unitstride_sbrr_dirReg
	.p2align	8
	.type	fft_rtc_back_len2916_factors_6_6_3_3_3_3_wgs_243_tpt_243_halfLds_half_op_CI_CI_unitstride_sbrr_dirReg,@function
fft_rtc_back_len2916_factors_6_6_3_3_3_3_wgs_243_tpt_243_halfLds_half_op_CI_CI_unitstride_sbrr_dirReg: ; @fft_rtc_back_len2916_factors_6_6_3_3_3_3_wgs_243_tpt_243_halfLds_half_op_CI_CI_unitstride_sbrr_dirReg
; %bb.0:
	s_clause 0x2
	s_load_dwordx4 s[12:15], s[4:5], 0x0
	s_load_dwordx4 s[8:11], s[4:5], 0x58
	;; [unrolled: 1-line block ×3, first 2 shown]
	v_mul_u32_u24_e32 v1, 0x10e, v0
	v_mov_b32_e32 v3, 0
	v_add_nc_u32_sdwa v5, s6, v1 dst_sel:DWORD dst_unused:UNUSED_PAD src0_sel:DWORD src1_sel:WORD_1
	v_mov_b32_e32 v1, 0
	v_mov_b32_e32 v6, v3
	v_mov_b32_e32 v2, 0
	s_waitcnt lgkmcnt(0)
	v_cmp_lt_u64_e64 s0, s[14:15], 2
	s_and_b32 vcc_lo, exec_lo, s0
	s_cbranch_vccnz .LBB0_8
; %bb.1:
	s_load_dwordx2 s[0:1], s[4:5], 0x10
	v_mov_b32_e32 v1, 0
	v_mov_b32_e32 v2, 0
	s_add_u32 s2, s18, 8
	s_addc_u32 s3, s19, 0
	s_add_u32 s6, s16, 8
	s_addc_u32 s7, s17, 0
	v_mov_b32_e32 v9, v2
	v_mov_b32_e32 v8, v1
	s_mov_b64 s[22:23], 1
	s_waitcnt lgkmcnt(0)
	s_add_u32 s20, s0, 8
	s_addc_u32 s21, s1, 0
.LBB0_2:                                ; =>This Inner Loop Header: Depth=1
	s_load_dwordx2 s[24:25], s[20:21], 0x0
                                        ; implicit-def: $vgpr10_vgpr11
	s_mov_b32 s0, exec_lo
	s_waitcnt lgkmcnt(0)
	v_or_b32_e32 v4, s25, v6
	v_cmpx_ne_u64_e32 0, v[3:4]
	s_xor_b32 s1, exec_lo, s0
	s_cbranch_execz .LBB0_4
; %bb.3:                                ;   in Loop: Header=BB0_2 Depth=1
	v_cvt_f32_u32_e32 v4, s24
	v_cvt_f32_u32_e32 v7, s25
	s_sub_u32 s0, 0, s24
	s_subb_u32 s26, 0, s25
	v_fmac_f32_e32 v4, 0x4f800000, v7
	v_rcp_f32_e32 v4, v4
	v_mul_f32_e32 v4, 0x5f7ffffc, v4
	v_mul_f32_e32 v7, 0x2f800000, v4
	v_trunc_f32_e32 v7, v7
	v_fmac_f32_e32 v4, 0xcf800000, v7
	v_cvt_u32_f32_e32 v7, v7
	v_cvt_u32_f32_e32 v4, v4
	v_mul_lo_u32 v10, s0, v7
	v_mul_hi_u32 v11, s0, v4
	v_mul_lo_u32 v12, s26, v4
	v_add_nc_u32_e32 v10, v11, v10
	v_mul_lo_u32 v11, s0, v4
	v_add_nc_u32_e32 v10, v10, v12
	v_mul_hi_u32 v12, v4, v11
	v_mul_lo_u32 v13, v4, v10
	v_mul_hi_u32 v14, v4, v10
	v_mul_hi_u32 v15, v7, v11
	v_mul_lo_u32 v11, v7, v11
	v_mul_hi_u32 v16, v7, v10
	v_mul_lo_u32 v10, v7, v10
	v_add_co_u32 v12, vcc_lo, v12, v13
	v_add_co_ci_u32_e32 v13, vcc_lo, 0, v14, vcc_lo
	v_add_co_u32 v11, vcc_lo, v12, v11
	v_add_co_ci_u32_e32 v11, vcc_lo, v13, v15, vcc_lo
	v_add_co_ci_u32_e32 v12, vcc_lo, 0, v16, vcc_lo
	v_add_co_u32 v10, vcc_lo, v11, v10
	v_add_co_ci_u32_e32 v11, vcc_lo, 0, v12, vcc_lo
	v_add_co_u32 v4, vcc_lo, v4, v10
	v_add_co_ci_u32_e32 v7, vcc_lo, v7, v11, vcc_lo
	v_mul_hi_u32 v10, s0, v4
	v_mul_lo_u32 v12, s26, v4
	v_mul_lo_u32 v11, s0, v7
	v_add_nc_u32_e32 v10, v10, v11
	v_mul_lo_u32 v11, s0, v4
	v_add_nc_u32_e32 v10, v10, v12
	v_mul_hi_u32 v12, v4, v11
	v_mul_lo_u32 v13, v4, v10
	v_mul_hi_u32 v14, v4, v10
	v_mul_hi_u32 v15, v7, v11
	v_mul_lo_u32 v11, v7, v11
	v_mul_hi_u32 v16, v7, v10
	v_mul_lo_u32 v10, v7, v10
	v_add_co_u32 v12, vcc_lo, v12, v13
	v_add_co_ci_u32_e32 v13, vcc_lo, 0, v14, vcc_lo
	v_add_co_u32 v11, vcc_lo, v12, v11
	v_add_co_ci_u32_e32 v11, vcc_lo, v13, v15, vcc_lo
	v_add_co_ci_u32_e32 v12, vcc_lo, 0, v16, vcc_lo
	v_add_co_u32 v10, vcc_lo, v11, v10
	v_add_co_ci_u32_e32 v11, vcc_lo, 0, v12, vcc_lo
	v_add_co_u32 v4, vcc_lo, v4, v10
	v_add_co_ci_u32_e32 v7, vcc_lo, v7, v11, vcc_lo
	v_mul_hi_u32 v16, v5, v4
	v_mad_u64_u32 v[12:13], null, v6, v4, 0
	v_mad_u64_u32 v[10:11], null, v5, v7, 0
	;; [unrolled: 1-line block ×3, first 2 shown]
	v_add_co_u32 v4, vcc_lo, v16, v10
	v_add_co_ci_u32_e32 v7, vcc_lo, 0, v11, vcc_lo
	v_add_co_u32 v4, vcc_lo, v4, v12
	v_add_co_ci_u32_e32 v4, vcc_lo, v7, v13, vcc_lo
	v_add_co_ci_u32_e32 v7, vcc_lo, 0, v15, vcc_lo
	v_add_co_u32 v4, vcc_lo, v4, v14
	v_add_co_ci_u32_e32 v7, vcc_lo, 0, v7, vcc_lo
	v_mul_lo_u32 v12, s25, v4
	v_mad_u64_u32 v[10:11], null, s24, v4, 0
	v_mul_lo_u32 v13, s24, v7
	v_sub_co_u32 v10, vcc_lo, v5, v10
	v_add3_u32 v11, v11, v13, v12
	v_sub_nc_u32_e32 v12, v6, v11
	v_subrev_co_ci_u32_e64 v12, s0, s25, v12, vcc_lo
	v_add_co_u32 v13, s0, v4, 2
	v_add_co_ci_u32_e64 v14, s0, 0, v7, s0
	v_sub_co_u32 v15, s0, v10, s24
	v_sub_co_ci_u32_e32 v11, vcc_lo, v6, v11, vcc_lo
	v_subrev_co_ci_u32_e64 v12, s0, 0, v12, s0
	v_cmp_le_u32_e32 vcc_lo, s24, v15
	v_cmp_eq_u32_e64 s0, s25, v11
	v_cndmask_b32_e64 v15, 0, -1, vcc_lo
	v_cmp_le_u32_e32 vcc_lo, s25, v12
	v_cndmask_b32_e64 v16, 0, -1, vcc_lo
	v_cmp_le_u32_e32 vcc_lo, s24, v10
	;; [unrolled: 2-line block ×3, first 2 shown]
	v_cndmask_b32_e64 v17, 0, -1, vcc_lo
	v_cmp_eq_u32_e32 vcc_lo, s25, v12
	v_cndmask_b32_e64 v10, v17, v10, s0
	v_cndmask_b32_e32 v12, v16, v15, vcc_lo
	v_add_co_u32 v15, vcc_lo, v4, 1
	v_add_co_ci_u32_e32 v16, vcc_lo, 0, v7, vcc_lo
	v_cmp_ne_u32_e32 vcc_lo, 0, v12
	v_cndmask_b32_e32 v11, v16, v14, vcc_lo
	v_cndmask_b32_e32 v12, v15, v13, vcc_lo
	v_cmp_ne_u32_e32 vcc_lo, 0, v10
	v_cndmask_b32_e32 v11, v7, v11, vcc_lo
	v_cndmask_b32_e32 v10, v4, v12, vcc_lo
.LBB0_4:                                ;   in Loop: Header=BB0_2 Depth=1
	s_andn2_saveexec_b32 s0, s1
	s_cbranch_execz .LBB0_6
; %bb.5:                                ;   in Loop: Header=BB0_2 Depth=1
	v_cvt_f32_u32_e32 v4, s24
	s_sub_i32 s1, 0, s24
	v_rcp_iflag_f32_e32 v4, v4
	v_mul_f32_e32 v4, 0x4f7ffffe, v4
	v_cvt_u32_f32_e32 v4, v4
	v_mul_lo_u32 v7, s1, v4
	v_mul_hi_u32 v7, v4, v7
	v_add_nc_u32_e32 v4, v4, v7
	v_mul_hi_u32 v4, v5, v4
	v_mul_lo_u32 v7, v4, s24
	v_add_nc_u32_e32 v10, 1, v4
	v_sub_nc_u32_e32 v7, v5, v7
	v_subrev_nc_u32_e32 v11, s24, v7
	v_cmp_le_u32_e32 vcc_lo, s24, v7
	v_cndmask_b32_e32 v7, v7, v11, vcc_lo
	v_cndmask_b32_e32 v4, v4, v10, vcc_lo
	v_mov_b32_e32 v11, v3
	v_cmp_le_u32_e32 vcc_lo, s24, v7
	v_add_nc_u32_e32 v10, 1, v4
	v_cndmask_b32_e32 v10, v4, v10, vcc_lo
.LBB0_6:                                ;   in Loop: Header=BB0_2 Depth=1
	s_or_b32 exec_lo, exec_lo, s0
	v_mul_lo_u32 v4, v11, s24
	v_mul_lo_u32 v7, v10, s25
	s_load_dwordx2 s[0:1], s[6:7], 0x0
	v_mad_u64_u32 v[12:13], null, v10, s24, 0
	s_load_dwordx2 s[24:25], s[2:3], 0x0
	s_add_u32 s22, s22, 1
	s_addc_u32 s23, s23, 0
	s_add_u32 s2, s2, 8
	s_addc_u32 s3, s3, 0
	s_add_u32 s6, s6, 8
	v_add3_u32 v4, v13, v7, v4
	v_sub_co_u32 v5, vcc_lo, v5, v12
	s_addc_u32 s7, s7, 0
	s_add_u32 s20, s20, 8
	v_sub_co_ci_u32_e32 v4, vcc_lo, v6, v4, vcc_lo
	s_addc_u32 s21, s21, 0
	s_waitcnt lgkmcnt(0)
	v_mul_lo_u32 v6, s0, v4
	v_mul_lo_u32 v7, s1, v5
	v_mad_u64_u32 v[1:2], null, s0, v5, v[1:2]
	v_mul_lo_u32 v4, s24, v4
	v_mul_lo_u32 v12, s25, v5
	v_mad_u64_u32 v[8:9], null, s24, v5, v[8:9]
	v_cmp_ge_u64_e64 s0, s[22:23], s[14:15]
	v_add3_u32 v2, v7, v2, v6
	v_add3_u32 v9, v12, v9, v4
	s_and_b32 vcc_lo, exec_lo, s0
	s_cbranch_vccnz .LBB0_9
; %bb.7:                                ;   in Loop: Header=BB0_2 Depth=1
	v_mov_b32_e32 v5, v10
	v_mov_b32_e32 v6, v11
	s_branch .LBB0_2
.LBB0_8:
	v_mov_b32_e32 v9, v2
	v_mov_b32_e32 v11, v6
	;; [unrolled: 1-line block ×4, first 2 shown]
.LBB0_9:
	s_load_dwordx2 s[0:1], s[4:5], 0x28
	v_mul_hi_u32 v31, 0x10db20b, v0
	s_lshl_b64 s[4:5], s[14:15], 3
                                        ; implicit-def: $vgpr14
	s_add_u32 s2, s18, s4
	s_addc_u32 s3, s19, s5
	s_waitcnt lgkmcnt(0)
	v_cmp_gt_u64_e32 vcc_lo, s[0:1], v[10:11]
	v_cmp_le_u64_e64 s0, s[0:1], v[10:11]
	s_and_saveexec_b32 s1, s0
	s_xor_b32 s0, exec_lo, s1
; %bb.10:
	v_mul_u32_u24_e32 v1, 0xf3, v31
                                        ; implicit-def: $vgpr31
	v_sub_nc_u32_e32 v14, v0, v1
                                        ; implicit-def: $vgpr0
                                        ; implicit-def: $vgpr1_vgpr2
; %bb.11:
	s_or_saveexec_b32 s1, s0
                                        ; implicit-def: $vgpr12
                                        ; implicit-def: $vgpr7
                                        ; implicit-def: $vgpr18
                                        ; implicit-def: $vgpr20
                                        ; implicit-def: $vgpr17
                                        ; implicit-def: $vgpr13
                                        ; implicit-def: $vgpr21
                                        ; implicit-def: $vgpr19
                                        ; implicit-def: $vgpr6
                                        ; implicit-def: $vgpr5
                                        ; implicit-def: $vgpr4
                                        ; implicit-def: $vgpr3
                                        ; implicit-def: $vgpr25
                                        ; implicit-def: $vgpr23
                                        ; implicit-def: $vgpr28
                                        ; implicit-def: $vgpr29
                                        ; implicit-def: $vgpr27
                                        ; implicit-def: $vgpr26
                                        ; implicit-def: $vgpr32
                                        ; implicit-def: $vgpr30
                                        ; implicit-def: $vgpr24
                                        ; implicit-def: $vgpr16
                                        ; implicit-def: $vgpr22
                                        ; implicit-def: $vgpr15
	s_xor_b32 exec_lo, exec_lo, s1
	s_cbranch_execz .LBB0_13
; %bb.12:
	s_add_u32 s4, s16, s4
	s_addc_u32 s5, s17, s5
	v_lshlrev_b64 v[1:2], 2, v[1:2]
	s_load_dwordx2 s[4:5], s[4:5], 0x0
	s_waitcnt lgkmcnt(0)
	v_mul_lo_u32 v5, s5, v10
	v_mul_lo_u32 v6, s4, v11
	v_mad_u64_u32 v[3:4], null, s4, v10, 0
	v_add3_u32 v4, v4, v6, v5
	v_mul_u32_u24_e32 v5, 0xf3, v31
	v_lshlrev_b64 v[3:4], 2, v[3:4]
	v_sub_nc_u32_e32 v14, v0, v5
	v_add_co_u32 v0, s0, s8, v3
	v_add_co_ci_u32_e64 v3, s0, s9, v4, s0
	v_lshlrev_b32_e32 v4, 2, v14
	v_add_co_u32 v0, s0, v0, v1
	v_add_co_ci_u32_e64 v1, s0, v3, v2, s0
	v_add_co_u32 v0, s0, v0, v4
	v_add_co_ci_u32_e64 v1, s0, 0, v1, s0
	s_clause 0x1
	global_load_dword v15, v[0:1], off
	global_load_dword v16, v[0:1], off offset:1944
	v_add_co_u32 v2, s0, 0x800, v0
	v_add_co_ci_u32_e64 v3, s0, 0, v1, s0
	v_add_co_u32 v4, s0, 0x1000, v0
	v_add_co_ci_u32_e64 v5, s0, 0, v1, s0
	;; [unrolled: 2-line block ×5, first 2 shown]
	s_clause 0x9
	global_load_dword v30, v[2:3], off offset:1840
	global_load_dword v29, v[6:7], off offset:1632
	;; [unrolled: 1-line block ×10, first 2 shown]
	s_waitcnt vmcnt(11)
	v_lshrrev_b32_e32 v22, 16, v15
	s_waitcnt vmcnt(10)
	v_lshrrev_b32_e32 v24, 16, v16
	;; [unrolled: 2-line block ×12, first 2 shown]
.LBB0_13:
	s_or_b32 exec_lo, exec_lo, s1
	v_add_f16_e32 v0, v29, v30
	v_add_f16_e32 v1, v30, v15
	v_sub_f16_e32 v2, v32, v28
	v_add_f16_e32 v31, v28, v32
	v_sub_f16_e32 v30, v30, v29
	v_fmac_f16_e32 v15, -0.5, v0
	v_add_f16_e32 v1, v29, v1
	v_add_f16_e32 v0, v32, v22
	v_fmac_f16_e32 v22, -0.5, v31
	v_add_f16_e32 v31, v23, v26
	v_fmamk_f16 v29, v2, 0xbaee, v15
	v_fmac_f16_e32 v15, 0x3aee, v2
	v_add_f16_e32 v2, v25, v27
	v_add_f16_e32 v32, v27, v24
	;; [unrolled: 1-line block ×3, first 2 shown]
	v_fmamk_f16 v28, v30, 0x3aee, v22
	v_sub_f16_e32 v27, v27, v25
	v_fmac_f16_e32 v24, -0.5, v2
	v_sub_f16_e32 v2, v26, v23
	v_add_f16_e32 v26, v26, v16
	v_fmac_f16_e32 v16, -0.5, v31
	v_fmac_f16_e32 v22, 0xbaee, v30
	v_add_f16_e32 v25, v25, v32
	v_fmamk_f16 v30, v2, 0x3aee, v24
	v_fmac_f16_e32 v24, 0xbaee, v2
	v_add_f16_e32 v2, v23, v26
	v_fmamk_f16 v23, v27, 0xbaee, v16
	v_fmac_f16_e32 v16, 0x3aee, v27
	v_mul_f16_e32 v26, 0xbaee, v30
	v_mul_f16_e32 v27, 0xbaee, v24
	v_mul_f16_e32 v24, -0.5, v24
	v_add_f16_e32 v35, v25, v0
	v_sub_f16_e32 v0, v0, v25
	v_fmac_f16_e32 v26, 0.5, v23
	v_add_f16_e32 v25, v20, v19
	v_fmac_f16_e32 v24, 0x3aee, v16
	v_mul_f16_e32 v31, 0x3aee, v23
	v_fmac_f16_e32 v27, -0.5, v16
	v_add_f16_e32 v23, v2, v1
	v_add_f16_e32 v16, v29, v26
	;; [unrolled: 1-line block ×3, first 2 shown]
	v_sub_f16_e32 v39, v22, v24
	v_add_f16_e32 v22, v18, v21
	v_sub_f16_e32 v1, v1, v2
	v_sub_f16_e32 v2, v29, v26
	v_add_f16_e32 v26, v19, v3
	v_fmac_f16_e32 v3, -0.5, v25
	v_sub_f16_e32 v24, v21, v18
	v_add_f16_e32 v21, v21, v4
	v_fmac_f16_e32 v4, -0.5, v22
	v_add_f16_e32 v22, v12, v17
	v_add_f16_e32 v25, v20, v26
	v_sub_f16_e32 v19, v19, v20
	v_fmamk_f16 v20, v24, 0xbaee, v3
	v_fmac_f16_e32 v3, 0x3aee, v24
	v_add_f16_e32 v24, v7, v13
	v_add_f16_e32 v26, v17, v6
	v_fmac_f16_e32 v6, -0.5, v22
	v_sub_f16_e32 v22, v13, v7
	v_add_f16_e32 v18, v18, v21
	v_fmamk_f16 v21, v19, 0x3aee, v4
	v_add_f16_e32 v13, v13, v5
	v_fmac_f16_e32 v5, -0.5, v24
	v_sub_f16_e32 v17, v17, v12
	v_fmac_f16_e32 v4, 0xbaee, v19
	v_fmamk_f16 v19, v22, 0x3aee, v6
	v_fmac_f16_e32 v6, 0xbaee, v22
	v_add_f16_e32 v7, v7, v13
	v_fmamk_f16 v13, v17, 0xbaee, v5
	v_fmac_f16_e32 v5, 0x3aee, v17
	v_mul_f16_e32 v17, 0xbaee, v19
	v_mul_f16_e32 v22, 0xbaee, v6
	v_mul_f16_e32 v6, -0.5, v6
	v_fmac_f16_e32 v31, 0.5, v30
	v_add_f16_e32 v30, v15, v27
	v_mul_f16_e32 v24, 0x3aee, v13
	v_fmac_f16_e32 v17, 0.5, v13
	v_fmac_f16_e32 v22, -0.5, v5
	v_add_f16_e32 v13, v7, v25
	v_fmac_f16_e32 v6, 0x3aee, v5
	v_sub_f16_e32 v7, v25, v7
	v_mul_u32_u24_e32 v25, 6, v14
	v_fmac_f16_e32 v24, 0.5, v19
	v_add_f16_e32 v5, v20, v17
	v_add_f16_e32 v19, v3, v22
	;; [unrolled: 1-line block ×3, first 2 shown]
	v_sub_f16_e32 v17, v20, v17
	v_sub_f16_e32 v3, v3, v22
	v_lshl_add_u32 v20, v25, 1, 0
	v_sub_f16_e32 v4, v4, v6
	v_pack_b32_f16 v1, v30, v1
	v_pack_b32_f16 v6, v23, v16
	;; [unrolled: 1-line block ×3, first 2 shown]
	v_and_b32_e32 v13, 0xff, v14
	v_add_f16_e32 v36, v28, v31
	v_sub_f16_e32 v15, v15, v27
	ds_write2_b32 v20, v6, v1 offset1:1
	v_pack_b32_f16 v1, v17, v3
	v_add_f16_e32 v12, v12, v26
	v_add_f16_e32 v42, v21, v24
	v_pack_b32_f16 v2, v2, v15
	v_pack_b32_f16 v7, v19, v7
	ds_write_b32 v20, v1 offset:2924
	v_mul_lo_u16 v1, 0xab, v13
	v_add_f16_e32 v40, v12, v18
	v_sub_f16_e32 v12, v18, v12
	v_sub_f16_e32 v18, v21, v24
	v_add_nc_u32_e32 v21, 0xb64, v20
	v_mad_i32_i24 v15, v14, -10, v20
	v_lshrrev_b16 v34, 10, v1
	v_pack_b32_f16 v0, v37, v0
	v_pack_b32_f16 v1, v35, v36
	s_load_dwordx2 s[2:3], s[2:3], 0x0
	v_sub_f16_e32 v38, v28, v31
	ds_write_b32 v20, v2 offset:8
	v_add_nc_u32_e32 v16, 0xf3, v14
	ds_write2_b32 v21, v5, v7 offset1:1
	s_waitcnt lgkmcnt(0)
	s_barrier
	buffer_gl0_inv
	ds_read_u16 v22, v15
	ds_read_u16 v28, v15 offset:3888
	ds_read_u16 v24, v15 offset:3402
	;; [unrolled: 1-line block ×11, first 2 shown]
	s_waitcnt lgkmcnt(0)
	s_barrier
	buffer_gl0_inv
	ds_write2_b32 v20, v1, v0 offset1:1
	v_mov_b32_e32 v0, 0xaaab
	v_mul_lo_u16 v2, v34, 6
	v_mov_b32_e32 v1, 5
	v_pack_b32_f16 v3, v43, v12
	v_pack_b32_f16 v5, v40, v42
	v_mul_u32_u24_sdwa v0, v16, v0 dst_sel:DWORD dst_unused:UNUSED_PAD src0_sel:WORD_0 src1_sel:DWORD
	v_sub_nc_u16 v41, v14, v2
	v_pack_b32_f16 v2, v38, v39
	ds_write_b32 v20, v2 offset:8
	ds_write2_b32 v21, v5, v3 offset1:1
	v_lshrrev_b32_e32 v35, 18, v0
	v_mul_u32_u24_sdwa v6, v41, v1 dst_sel:DWORD dst_unused:UNUSED_PAD src0_sel:BYTE_0 src1_sel:DWORD
	v_pack_b32_f16 v4, v18, v4
	v_mov_b32_e32 v19, 0xe38f
	v_add_nc_u32_e32 v17, 0x1e6, v14
	v_mul_lo_u16 v2, v35, 6
	v_lshlrev_b32_e32 v0, 2, v6
	ds_write_b32 v20, v4 offset:2924
	s_waitcnt lgkmcnt(0)
	s_barrier
	v_sub_nc_u16 v43, v16, v2
	buffer_gl0_inv
	global_load_dwordx4 v[4:7], v0, s[12:13]
	v_add_nc_u32_e32 v18, 0x2d9, v14
	v_mul_lo_u16 v36, v13, 57
	v_mul_u32_u24_sdwa v1, v43, v1 dst_sel:DWORD dst_unused:UNUSED_PAD src0_sel:WORD_0 src1_sel:DWORD
	v_mul_u32_u24_sdwa v38, v16, v19 dst_sel:DWORD dst_unused:UNUSED_PAD src0_sel:WORD_0 src1_sel:DWORD
	;; [unrolled: 1-line block ×4, first 2 shown]
	v_lshrrev_b16 v37, 11, v36
	v_lshlrev_b32_e32 v12, 2, v1
	s_clause 0x2
	global_load_dword v40, v0, s[12:13] offset:16
	global_load_dwordx4 v[0:3], v12, s[12:13]
	global_load_dword v42, v12, s[12:13] offset:16
	v_lshrrev_b32_e32 v38, 21, v38
	v_mov_b32_e32 v44, 0x48
	v_lshrrev_b32_e32 v36, 21, v39
	v_lshrrev_b32_e32 v39, 21, v45
	v_mul_lo_u16 v45, v37, 36
	v_mul_lo_u16 v46, v38, 36
	v_mul_u32_u24_sdwa v44, v34, v44 dst_sel:DWORD dst_unused:UNUSED_PAD src0_sel:WORD_0 src1_sel:DWORD
	v_mul_u32_u24_e32 v47, 0x48, v35
	v_mov_b32_e32 v20, 1
	v_sub_nc_u16 v34, v14, v45
	v_sub_nc_u16 v35, v16, v46
	ds_read_u16 v45, v15 offset:972
	ds_read_u16 v46, v15 offset:1944
	;; [unrolled: 1-line block ×3, first 2 shown]
	v_lshlrev_b32_sdwa v41, v20, v41 dst_sel:DWORD dst_unused:UNUSED_PAD src0_sel:DWORD src1_sel:BYTE_0
	v_lshlrev_b32_sdwa v43, v20, v43 dst_sel:DWORD dst_unused:UNUSED_PAD src0_sel:DWORD src1_sel:WORD_0
	v_lshlrev_b32_e32 v12, 1, v14
	v_mov_b32_e32 v21, 3
	v_mul_lo_u16 v48, v36, 36
	v_add3_u32 v41, 0, v44, v41
	v_add3_u32 v43, 0, v47, v43
	ds_read_u16 v44, v15 offset:3888
	ds_read_u16 v47, v15 offset:3402
	;; [unrolled: 1-line block ×7, first 2 shown]
	ds_read_u16 v57, v15
	ds_read_u16 v58, v15 offset:486
	s_waitcnt vmcnt(0) lgkmcnt(0)
	s_barrier
	buffer_gl0_inv
	v_add_nc_u32_e32 v19, 0, v12
	v_lshlrev_b32_sdwa v49, v21, v34 dst_sel:DWORD dst_unused:UNUSED_PAD src0_sel:DWORD src1_sel:BYTE_0
	v_lshlrev_b32_sdwa v50, v21, v35 dst_sel:DWORD dst_unused:UNUSED_PAD src0_sel:DWORD src1_sel:WORD_0
	v_lshlrev_b32_sdwa v34, v20, v34 dst_sel:DWORD dst_unused:UNUSED_PAD src0_sel:DWORD src1_sel:BYTE_0
	v_mul_u32_u24_e32 v38, 0xd8, v38
	v_lshlrev_b32_sdwa v35, v20, v35 dst_sel:DWORD dst_unused:UNUSED_PAD src0_sel:DWORD src1_sel:WORD_0
	v_cmp_gt_u32_e64 s0, 0x51, v14
	v_add3_u32 v35, 0, v38, v35
	v_mul_f16_sdwa v59, v45, v4 dst_sel:DWORD dst_unused:UNUSED_PAD src0_sel:DWORD src1_sel:WORD_1
	v_mul_f16_sdwa v60, v33, v4 dst_sel:DWORD dst_unused:UNUSED_PAD src0_sel:DWORD src1_sel:WORD_1
	;; [unrolled: 1-line block ×4, first 2 shown]
	v_fmac_f16_e32 v59, v33, v4
	v_mul_f16_sdwa v33, v51, v6 dst_sel:DWORD dst_unused:UNUSED_PAD src0_sel:DWORD src1_sel:WORD_1
	v_fma_f16 v4, v45, v4, -v60
	v_mul_f16_sdwa v45, v31, v6 dst_sel:DWORD dst_unused:UNUSED_PAD src0_sel:DWORD src1_sel:WORD_1
	v_fmac_f16_e32 v61, v32, v5
	v_mul_f16_sdwa v32, v44, v7 dst_sel:DWORD dst_unused:UNUSED_PAD src0_sel:DWORD src1_sel:WORD_1
	v_fma_f16 v5, v46, v5, -v62
	v_mul_f16_sdwa v46, v28, v7 dst_sel:DWORD dst_unused:UNUSED_PAD src0_sel:DWORD src1_sel:WORD_1
	;; [unrolled: 4-line block ×4, first 2 shown]
	v_mul_f16_sdwa v46, v52, v1 dst_sel:DWORD dst_unused:UNUSED_PAD src0_sel:DWORD src1_sel:WORD_1
	v_mul_f16_sdwa v60, v47, v2 dst_sel:DWORD dst_unused:UNUSED_PAD src0_sel:DWORD src1_sel:WORD_1
	;; [unrolled: 1-line block ×3, first 2 shown]
	v_fmac_f16_e32 v31, v30, v40
	v_fma_f16 v40, v55, v40, -v45
	v_mul_f16_sdwa v55, v54, v42 dst_sel:DWORD dst_unused:UNUSED_PAD src0_sel:DWORD src1_sel:WORD_1
	v_fmac_f16_e32 v28, v27, v0
	v_mul_f16_sdwa v27, v26, v42 dst_sel:DWORD dst_unused:UNUSED_PAD src0_sel:DWORD src1_sel:WORD_1
	v_mul_f16_sdwa v51, v25, v1 dst_sel:DWORD dst_unused:UNUSED_PAD src0_sel:DWORD src1_sel:WORD_1
	;; [unrolled: 1-line block ×4, first 2 shown]
	v_fma_f16 v0, v53, v0, -v44
	v_fmac_f16_e32 v46, v25, v1
	v_fmac_f16_e32 v60, v24, v2
	v_fma_f16 v2, v47, v2, -v62
	v_fmac_f16_e32 v55, v26, v42
	v_fma_f16 v24, v54, v42, -v27
	v_add_f16_e32 v25, v22, v61
	v_add_f16_e32 v26, v61, v32
	v_fma_f16 v1, v52, v1, -v51
	v_fmac_f16_e32 v30, v29, v3
	v_fma_f16 v3, v56, v3, -v45
	v_sub_f16_e32 v47, v6, v40
	v_add_f16_e32 v51, v4, v6
	v_add_f16_e32 v6, v6, v40
	v_sub_f16_e32 v42, v61, v32
	v_add_f16_e32 v62, v60, v55
	v_add_f16_e32 v25, v25, v32
	v_sub_f16_e32 v32, v2, v24
	v_fmac_f16_e32 v22, -0.5, v26
	v_add_f16_e32 v26, v0, v2
	v_add_f16_e32 v2, v2, v24
	v_sub_f16_e32 v27, v5, v7
	v_add_f16_e32 v29, v57, v5
	v_add_f16_e32 v5, v5, v7
	;; [unrolled: 1-line block ×4, first 2 shown]
	v_sub_f16_e32 v33, v33, v31
	v_add_f16_e32 v52, v23, v46
	v_sub_f16_e32 v54, v1, v3
	v_add_f16_e32 v56, v58, v1
	v_add_f16_e32 v1, v1, v3
	;; [unrolled: 1-line block ×3, first 2 shown]
	v_fmac_f16_e32 v4, -0.5, v6
	v_sub_f16_e32 v60, v60, v55
	v_fmac_f16_e32 v28, -0.5, v62
	v_fmac_f16_e32 v0, -0.5, v2
	v_add_f16_e32 v53, v46, v30
	v_sub_f16_e32 v46, v46, v30
	v_fmac_f16_e32 v57, -0.5, v5
	v_fmac_f16_e32 v59, -0.5, v45
	v_add_f16_e32 v6, v52, v30
	v_fmac_f16_e32 v58, -0.5, v1
	v_add_f16_e32 v1, v61, v55
	v_fmamk_f16 v30, v33, 0x3aee, v4
	v_add_f16_e32 v3, v56, v3
	v_add_f16_e32 v24, v26, v24
	v_fmac_f16_e32 v4, 0xbaee, v33
	v_add_f16_e32 v7, v29, v7
	v_add_f16_e32 v5, v44, v31
	;; [unrolled: 1-line block ×3, first 2 shown]
	v_fmamk_f16 v33, v32, 0xbaee, v28
	v_fmac_f16_e32 v28, 0x3aee, v32
	v_fmamk_f16 v32, v60, 0x3aee, v0
	v_fmac_f16_e32 v0, 0xbaee, v60
	;; [unrolled: 2-line block ×4, first 2 shown]
	v_fmamk_f16 v27, v47, 0xbaee, v59
	v_add_f16_e32 v42, v6, v1
	v_sub_f16_e32 v1, v6, v1
	v_mul_f16_e32 v6, 0xbaee, v30
	v_fmac_f16_e32 v59, 0x3aee, v47
	v_add_f16_e32 v44, v3, v24
	v_sub_f16_e32 v3, v3, v24
	v_mul_f16_e32 v24, 0xbaee, v4
	v_mul_f16_e32 v30, 0.5, v30
	v_mul_f16_e32 v4, -0.5, v4
	v_fmac_f16_e32 v23, -0.5, v53
	v_add_f16_e32 v31, v25, v5
	v_add_f16_e32 v40, v7, v29
	v_sub_f16_e32 v5, v25, v5
	v_sub_f16_e32 v25, v7, v29
	v_fmamk_f16 v29, v46, 0x3aee, v58
	v_fmac_f16_e32 v58, 0xbaee, v46
	v_mul_f16_e32 v45, 0xbaee, v32
	v_mul_f16_e32 v46, 0xbaee, v0
	v_mul_f16_e32 v0, -0.5, v0
	v_mul_f16_e32 v32, 0.5, v32
	v_fmac_f16_e32 v6, 0.5, v27
	v_fmac_f16_e32 v24, -0.5, v59
	v_fmac_f16_e32 v30, 0x3aee, v27
	v_fmac_f16_e32 v4, 0x3aee, v59
	v_fmamk_f16 v7, v54, 0xbaee, v23
	v_fmac_f16_e32 v23, 0x3aee, v54
	v_fmac_f16_e32 v45, 0.5, v33
	v_fmac_f16_e32 v46, -0.5, v28
	v_fmac_f16_e32 v0, 0x3aee, v28
	ds_write_b16 v41, v31
	ds_write_b16 v41, v5 offset:36
	v_fmac_f16_e32 v32, 0x3aee, v33
	v_add_f16_e32 v5, v2, v6
	v_add_f16_e32 v27, v22, v24
	;; [unrolled: 1-line block ×4, first 2 shown]
	v_sub_f16_e32 v2, v2, v6
	v_sub_f16_e32 v6, v22, v24
	;; [unrolled: 1-line block ×3, first 2 shown]
	v_add_f16_e32 v22, v7, v45
	v_add_f16_e32 v26, v23, v46
	;; [unrolled: 1-line block ×3, first 2 shown]
	v_sub_f16_e32 v7, v7, v45
	v_sub_f16_e32 v0, v58, v0
	;; [unrolled: 1-line block ×3, first 2 shown]
	v_add_f16_e32 v52, v29, v32
	v_sub_f16_e32 v23, v23, v46
	v_sub_f16_e32 v45, v29, v32
	ds_write_b16 v41, v5 offset:12
	ds_write_b16 v41, v27 offset:24
	;; [unrolled: 1-line block ×4, first 2 shown]
	ds_write_b16 v43, v42
	ds_write_b16 v43, v22 offset:12
	ds_write_b16 v43, v26 offset:24
	;; [unrolled: 1-line block ×5, first 2 shown]
	s_waitcnt lgkmcnt(0)
	s_barrier
	buffer_gl0_inv
	ds_read_u16 v6, v15
	ds_read_u16 v5, v15 offset:486
	ds_read_u16 v27, v15 offset:2916
	ds_read_u16 v32, v15 offset:3888
	ds_read_u16 v26, v15 offset:3402
	ds_read_u16 v31, v15 offset:2430
	ds_read_u16 v33, v15 offset:1944
	ds_read_u16 v7, v15 offset:972
	ds_read_u16 v30, v15 offset:4374
	ds_read_u16 v29, v15 offset:4860
	ds_read_u16 v22, v19 offset:1458
	ds_read_u16 v28, v15 offset:5346
	s_waitcnt lgkmcnt(0)
	s_barrier
	buffer_gl0_inv
	ds_write_b16 v41, v40
	ds_write_b16 v41, v47 offset:12
	ds_write_b16 v41, v51 offset:24
	;; [unrolled: 1-line block ×5, first 2 shown]
	ds_write_b16 v43, v44
	ds_write_b16 v43, v52 offset:12
	ds_write_b16 v43, v53 offset:24
	ds_write_b16 v43, v3 offset:36
	ds_write_b16 v43, v45 offset:48
	ds_write_b16 v43, v0 offset:60
	v_mul_lo_u16 v0, v39, 36
	s_waitcnt lgkmcnt(0)
	s_barrier
	buffer_gl0_inv
	s_clause 0x1
	global_load_dwordx2 v[40:41], v49, s[12:13] offset:120
	global_load_dwordx2 v[42:43], v50, s[12:13] offset:120
	v_sub_nc_u16 v24, v17, v48
	v_sub_nc_u16 v25, v18, v0
	v_mov_b32_e32 v23, 0x4bdb
	v_mul_lo_u16 v4, v13, 19
	v_lshrrev_b16 v13, 2, v16
	v_lshlrev_b32_sdwa v1, v21, v24 dst_sel:DWORD dst_unused:UNUSED_PAD src0_sel:DWORD src1_sel:WORD_0
	v_lshlrev_b32_sdwa v0, v21, v25 dst_sel:DWORD dst_unused:UNUSED_PAD src0_sel:DWORD src1_sel:WORD_0
	v_lshrrev_b16 v44, 2, v17
	v_lshrrev_b16 v45, 2, v18
	v_mov_b32_e32 v46, 0xd8
	s_clause 0x1
	global_load_dwordx2 v[2:3], v1, s[12:13] offset:120
	global_load_dwordx2 v[0:1], v0, s[12:13] offset:120
	v_lshrrev_b16 v4, 11, v4
	v_mul_u32_u24_sdwa v13, v13, v23 dst_sel:DWORD dst_unused:UNUSED_PAD src0_sel:WORD_0 src1_sel:DWORD
	v_mul_u32_u24_sdwa v44, v44, v23 dst_sel:DWORD dst_unused:UNUSED_PAD src0_sel:WORD_0 src1_sel:DWORD
	;; [unrolled: 1-line block ×4, first 2 shown]
	v_mul_lo_u16 v45, 0x6c, v4
	v_lshrrev_b32_e32 v46, 19, v13
	v_mul_u32_u24_e32 v13, 0xd8, v36
	v_mul_u32_u24_e32 v36, 0xd8, v39
	v_lshrrev_b32_e32 v39, 19, v23
	v_sub_nc_u16 v23, v14, v45
	v_mul_lo_u16 v45, 0x6c, v46
	v_lshlrev_b32_sdwa v48, v20, v24 dst_sel:DWORD dst_unused:UNUSED_PAD src0_sel:DWORD src1_sel:WORD_0
	v_add3_u32 v34, 0, v37, v34
	ds_read_u16 v37, v15 offset:3888
	ds_read_u16 v38, v15 offset:2430
	v_sub_nc_u16 v24, v16, v45
	ds_read_u16 v45, v15 offset:1944
	v_lshlrev_b32_sdwa v49, v20, v25 dst_sel:DWORD dst_unused:UNUSED_PAD src0_sel:DWORD src1_sel:WORD_0
	v_add3_u32 v13, 0, v13, v48
	v_lshrrev_b32_e32 v44, 19, v44
	v_lshlrev_b32_sdwa v50, v21, v23 dst_sel:DWORD dst_unused:UNUSED_PAD src0_sel:DWORD src1_sel:BYTE_0
	v_mul_u32_u24_e32 v46, 0x288, v46
	v_add3_u32 v36, 0, v36, v49
	ds_read_u16 v48, v15 offset:4374
	ds_read_u16 v49, v15
	ds_read_u16 v51, v15 offset:486
	ds_read_u16 v52, v15 offset:2916
	;; [unrolled: 1-line block ×7, first 2 shown]
	v_mul_lo_u16 v47, 0x6c, v44
	s_waitcnt vmcnt(0) lgkmcnt(0)
	s_barrier
	buffer_gl0_inv
	v_lshlrev_b32_sdwa v23, v20, v23 dst_sel:DWORD dst_unused:UNUSED_PAD src0_sel:DWORD src1_sel:BYTE_0
	v_sub_nc_u16 v25, v17, v47
	v_lshlrev_b32_sdwa v47, v21, v24 dst_sel:DWORD dst_unused:UNUSED_PAD src0_sel:DWORD src1_sel:WORD_0
	v_lshlrev_b32_sdwa v24, v20, v24 dst_sel:DWORD dst_unused:UNUSED_PAD src0_sel:DWORD src1_sel:WORD_0
	v_mul_u32_u24_e32 v44, 0x288, v44
	v_add3_u32 v24, 0, v46, v24
	v_mul_f16_sdwa v58, v45, v40 dst_sel:DWORD dst_unused:UNUSED_PAD src0_sel:DWORD src1_sel:WORD_1
	v_mul_f16_sdwa v59, v33, v40 dst_sel:DWORD dst_unused:UNUSED_PAD src0_sel:DWORD src1_sel:WORD_1
	;; [unrolled: 1-line block ×5, first 2 shown]
	v_fmac_f16_e32 v58, v33, v40
	v_mul_f16_sdwa v33, v31, v42 dst_sel:DWORD dst_unused:UNUSED_PAD src0_sel:DWORD src1_sel:WORD_1
	v_fma_f16 v40, v45, v40, -v59
	v_mul_f16_sdwa v45, v48, v43 dst_sel:DWORD dst_unused:UNUSED_PAD src0_sel:DWORD src1_sel:WORD_1
	v_fmac_f16_e32 v60, v32, v41
	v_mul_f16_sdwa v32, v30, v43 dst_sel:DWORD dst_unused:UNUSED_PAD src0_sel:DWORD src1_sel:WORD_1
	v_fma_f16 v37, v37, v41, -v61
	v_mul_f16_sdwa v41, v52, v2 dst_sel:DWORD dst_unused:UNUSED_PAD src0_sel:DWORD src1_sel:WORD_1
	v_mul_f16_sdwa v59, v27, v2 dst_sel:DWORD dst_unused:UNUSED_PAD src0_sel:DWORD src1_sel:WORD_1
	;; [unrolled: 1-line block ×3, first 2 shown]
	v_fmac_f16_e32 v62, v31, v42
	v_mul_f16_sdwa v31, v29, v3 dst_sel:DWORD dst_unused:UNUSED_PAD src0_sel:DWORD src1_sel:WORD_1
	v_fma_f16 v33, v38, v42, -v33
	v_mul_f16_sdwa v38, v53, v0 dst_sel:DWORD dst_unused:UNUSED_PAD src0_sel:DWORD src1_sel:WORD_1
	v_mul_f16_sdwa v42, v56, v1 dst_sel:DWORD dst_unused:UNUSED_PAD src0_sel:DWORD src1_sel:WORD_1
	v_fmac_f16_e32 v45, v30, v43
	v_mul_f16_sdwa v30, v26, v0 dst_sel:DWORD dst_unused:UNUSED_PAD src0_sel:DWORD src1_sel:WORD_1
	v_fma_f16 v32, v48, v43, -v32
	v_mul_f16_sdwa v43, v28, v1 dst_sel:DWORD dst_unused:UNUSED_PAD src0_sel:DWORD src1_sel:WORD_1
	v_fmac_f16_e32 v41, v27, v2
	v_fma_f16 v2, v52, v2, -v59
	v_fmac_f16_e32 v61, v29, v3
	v_fma_f16 v3, v55, v3, -v31
	v_fmac_f16_e32 v38, v26, v0
	v_fmac_f16_e32 v42, v28, v1
	v_add_f16_e32 v26, v6, v58
	v_fma_f16 v0, v53, v0, -v30
	v_fma_f16 v1, v56, v1, -v43
	v_add_f16_e32 v27, v58, v60
	v_add_f16_e32 v29, v49, v40
	;; [unrolled: 1-line block ×3, first 2 shown]
	v_sub_f16_e32 v31, v58, v60
	v_add_f16_e32 v56, v41, v61
	v_sub_f16_e32 v58, v2, v3
	v_add_f16_e32 v59, v54, v2
	v_add_f16_e32 v2, v2, v3
	;; [unrolled: 1-line block ×4, first 2 shown]
	v_sub_f16_e32 v28, v40, v37
	v_add_f16_e32 v30, v40, v37
	v_fmac_f16_e32 v6, -0.5, v27
	v_sub_f16_e32 v27, v0, v1
	v_add_f16_e32 v29, v29, v37
	v_add_f16_e32 v37, v57, v0
	;; [unrolled: 1-line block ×4, first 2 shown]
	v_sub_f16_e32 v48, v33, v32
	v_add_f16_e32 v52, v51, v33
	v_add_f16_e32 v33, v33, v32
	v_fmac_f16_e32 v5, -0.5, v43
	v_sub_f16_e32 v53, v62, v45
	v_add_f16_e32 v55, v7, v41
	v_sub_f16_e32 v41, v41, v61
	v_add_f16_e32 v62, v22, v38
	v_fmac_f16_e32 v7, -0.5, v56
	v_fmac_f16_e32 v54, -0.5, v2
	;; [unrolled: 1-line block ×5, first 2 shown]
	v_fmamk_f16 v0, v28, 0xbaee, v6
	v_fmac_f16_e32 v6, 0x3aee, v28
	v_add_f16_e32 v30, v40, v45
	v_fmac_f16_e32 v51, -0.5, v33
	v_add_f16_e32 v40, v59, v3
	v_fmamk_f16 v3, v48, 0xbaee, v5
	v_sub_f16_e32 v38, v38, v42
	v_add_f16_e32 v33, v55, v61
	v_add_f16_e32 v2, v62, v42
	;; [unrolled: 1-line block ×3, first 2 shown]
	v_fmac_f16_e32 v5, 0x3aee, v48
	v_fmamk_f16 v37, v58, 0xbaee, v7
	v_fmac_f16_e32 v7, 0x3aee, v58
	v_fmamk_f16 v42, v41, 0x3aee, v54
	;; [unrolled: 2-line block ×3, first 2 shown]
	v_fmac_f16_e32 v22, 0x3aee, v27
	ds_write_b16 v34, v26
	ds_write_b16 v34, v0 offset:72
	ds_write_b16 v34, v6 offset:144
	ds_write_b16 v35, v30
	ds_write_b16 v35, v3 offset:72
	ds_write_b16 v35, v5 offset:144
	;; [unrolled: 3-line block ×4, first 2 shown]
	v_mul_lo_u16 v0, 0x6c, v39
	v_fmamk_f16 v28, v31, 0x3aee, v49
	v_fmac_f16_e32 v49, 0xbaee, v31
	v_add_f16_e32 v32, v52, v32
	v_fmamk_f16 v31, v53, 0x3aee, v51
	v_fmac_f16_e32 v51, 0xbaee, v53
	v_fmamk_f16 v43, v38, 0x3aee, v57
	v_fmac_f16_e32 v57, 0xbaee, v38
	s_waitcnt lgkmcnt(0)
	s_barrier
	buffer_gl0_inv
	ds_read_u16 v3, v15
	ds_read_u16 v2, v15 offset:486
	ds_read_u16 v22, v15 offset:2916
	;; [unrolled: 1-line block ×11, first 2 shown]
	s_waitcnt lgkmcnt(0)
	s_barrier
	buffer_gl0_inv
	ds_write_b16 v34, v29
	ds_write_b16 v34, v28 offset:72
	ds_write_b16 v34, v49 offset:144
	ds_write_b16 v35, v32
	ds_write_b16 v35, v31 offset:72
	ds_write_b16 v35, v51 offset:144
	;; [unrolled: 3-line block ×4, first 2 shown]
	v_sub_nc_u16 v40, v18, v0
	s_waitcnt lgkmcnt(0)
	s_barrier
	buffer_gl0_inv
	s_clause 0x1
	global_load_dwordx2 v[28:29], v50, s[12:13] offset:408
	global_load_dwordx2 v[30:31], v47, s[12:13] offset:408
	v_lshlrev_b32_sdwa v1, v21, v25 dst_sel:DWORD dst_unused:UNUSED_PAD src0_sel:DWORD src1_sel:WORD_0
	v_lshlrev_b32_sdwa v0, v21, v40 dst_sel:DWORD dst_unused:UNUSED_PAD src0_sel:DWORD src1_sel:WORD_0
	v_mov_b32_e32 v43, 0x288
	ds_read_u16 v49, v15 offset:1944
	ds_read_u16 v50, v15 offset:3888
	;; [unrolled: 1-line block ×3, first 2 shown]
	s_clause 0x1
	global_load_dwordx2 v[32:33], v1, s[12:13] offset:408
	global_load_dwordx2 v[34:35], v0, s[12:13] offset:408
	v_mul_u32_u24_sdwa v4, v4, v43 dst_sel:DWORD dst_unused:UNUSED_PAD src0_sel:WORD_0 src1_sel:DWORD
	v_mul_u32_u24_e32 v39, 0x288, v39
	v_lshlrev_b32_sdwa v25, v20, v25 dst_sel:DWORD dst_unused:UNUSED_PAD src0_sel:DWORD src1_sel:WORD_0
	v_lshlrev_b32_sdwa v40, v20, v40 dst_sel:DWORD dst_unused:UNUSED_PAD src0_sel:DWORD src1_sel:WORD_0
	v_mov_b32_e32 v1, 0x6523
	v_add3_u32 v4, 0, v4, v23
	ds_read_u16 v23, v15 offset:2430
	v_add3_u32 v25, 0, v44, v25
	v_add3_u32 v39, 0, v39, v40
	ds_read_u16 v40, v15 offset:2916
	ds_read_u16 v44, v15
	ds_read_u16 v51, v15 offset:486
	ds_read_u16 v52, v15 offset:3402
	;; [unrolled: 1-line block ×6, first 2 shown]
	v_mul_u32_u24_sdwa v42, v18, v1 dst_sel:DWORD dst_unused:UNUSED_PAD src0_sel:WORD_0 src1_sel:DWORD
	v_add_nc_u32_e32 v0, 0xffffffaf, v14
	v_mul_u32_u24_sdwa v37, v17, v1 dst_sel:DWORD dst_unused:UNUSED_PAD src0_sel:WORD_0 src1_sel:DWORD
	v_mov_b32_e32 v13, 0
	s_waitcnt vmcnt(0) lgkmcnt(0)
	v_lshrrev_b32_e32 v42, 23, v42
	v_cndmask_b32_e64 v36, v0, v16, s0
	v_lshrrev_b32_e32 v47, 23, v37
	v_lshlrev_b64 v[0:1], 2, v[12:13]
	s_barrier
	v_mul_lo_u16 v42, 0x144, v42
	v_lshlrev_b32_e32 v12, 1, v36
	v_mul_lo_u16 v43, 0x144, v47
	buffer_gl0_inv
	v_add_co_u32 v0, s0, s12, v0
	v_sub_nc_u16 v42, v18, v42
	v_lshlrev_b64 v[36:37], 2, v[12:13]
	v_sub_nc_u16 v43, v17, v43
	v_add_co_ci_u32_e64 v1, s0, s13, v1, s0
	v_add_co_u32 v36, s0, s12, v36
	v_add_co_ci_u32_e64 v37, s0, s13, v37, s0
	v_cmp_lt_u32_e64 s0, 0x50, v14
	v_lshlrev_b32_sdwa v20, v20, v43 dst_sel:DWORD dst_unused:UNUSED_PAD src0_sel:DWORD src1_sel:WORD_0
	v_mul_f16_sdwa v57, v49, v28 dst_sel:DWORD dst_unused:UNUSED_PAD src0_sel:DWORD src1_sel:WORD_1
	v_mul_f16_sdwa v58, v45, v28 dst_sel:DWORD dst_unused:UNUSED_PAD src0_sel:DWORD src1_sel:WORD_1
	;; [unrolled: 1-line block ×7, first 2 shown]
	v_fmac_f16_e32 v57, v45, v28
	v_mul_f16_sdwa v45, v48, v31 dst_sel:DWORD dst_unused:UNUSED_PAD src0_sel:DWORD src1_sel:WORD_1
	v_fma_f16 v28, v49, v28, -v58
	v_mul_f16_sdwa v49, v40, v32 dst_sel:DWORD dst_unused:UNUSED_PAD src0_sel:DWORD src1_sel:WORD_1
	v_fmac_f16_e32 v59, v38, v29
	v_fma_f16 v29, v50, v29, -v60
	v_mul_f16_sdwa v50, v54, v33 dst_sel:DWORD dst_unused:UNUSED_PAD src0_sel:DWORD src1_sel:WORD_1
	v_mul_f16_sdwa v60, v52, v34 dst_sel:DWORD dst_unused:UNUSED_PAD src0_sel:DWORD src1_sel:WORD_1
	v_fmac_f16_e32 v61, v41, v30
	v_fma_f16 v23, v23, v30, -v62
	v_mul_f16_sdwa v30, v55, v35 dst_sel:DWORD dst_unused:UNUSED_PAD src0_sel:DWORD src1_sel:WORD_1
	v_mul_f16_sdwa v38, v22, v32 dst_sel:DWORD dst_unused:UNUSED_PAD src0_sel:DWORD src1_sel:WORD_1
	;; [unrolled: 1-line block ×4, first 2 shown]
	v_fmac_f16_e32 v63, v48, v31
	v_mul_f16_sdwa v48, v26, v35 dst_sel:DWORD dst_unused:UNUSED_PAD src0_sel:DWORD src1_sel:WORD_1
	v_fma_f16 v31, v46, v31, -v45
	v_fmac_f16_e32 v49, v22, v32
	v_fmac_f16_e32 v50, v27, v33
	;; [unrolled: 1-line block ×4, first 2 shown]
	v_fma_f16 v22, v40, v32, -v38
	v_fma_f16 v27, v54, v33, -v58
	;; [unrolled: 1-line block ×4, first 2 shown]
	v_add_f16_e32 v32, v3, v57
	v_add_f16_e32 v33, v57, v59
	v_sub_f16_e32 v34, v28, v29
	v_add_f16_e32 v35, v44, v28
	v_add_f16_e32 v28, v28, v29
	;; [unrolled: 1-line block ×4, first 2 shown]
	v_sub_f16_e32 v45, v23, v31
	v_add_f16_e32 v46, v51, v23
	v_add_f16_e32 v23, v23, v31
	v_sub_f16_e32 v48, v61, v63
	v_add_f16_e32 v54, v49, v50
	v_add_f16_e32 v61, v60, v30
	v_sub_f16_e32 v38, v57, v59
	v_sub_f16_e32 v55, v22, v27
	v_add_f16_e32 v57, v53, v22
	v_add_f16_e32 v22, v22, v27
	v_sub_f16_e32 v62, v7, v26
	v_add_f16_e32 v32, v32, v59
	v_add_f16_e32 v59, v56, v7
	v_add_f16_e32 v7, v7, v26
	v_add_f16_e32 v58, v6, v60
	v_fmac_f16_e32 v3, -0.5, v33
	v_fmac_f16_e32 v44, -0.5, v28
	v_add_f16_e32 v52, v5, v49
	v_fmac_f16_e32 v2, -0.5, v41
	v_fmac_f16_e32 v51, -0.5, v23
	;; [unrolled: 1-line block ×4, first 2 shown]
	v_sub_f16_e32 v49, v49, v50
	v_sub_f16_e32 v60, v60, v30
	v_add_f16_e32 v29, v35, v29
	v_fmac_f16_e32 v53, -0.5, v22
	v_fmac_f16_e32 v56, -0.5, v7
	v_add_f16_e32 v22, v58, v30
	v_fmamk_f16 v7, v34, 0xbaee, v3
	v_fmamk_f16 v30, v38, 0x3aee, v44
	v_fmac_f16_e32 v3, 0x3aee, v34
	v_fmac_f16_e32 v44, 0xbaee, v38
	v_add_f16_e32 v28, v40, v63
	v_add_f16_e32 v31, v46, v31
	;; [unrolled: 1-line block ×3, first 2 shown]
	v_fmamk_f16 v33, v45, 0xbaee, v2
	v_fmamk_f16 v34, v48, 0x3aee, v51
	;; [unrolled: 1-line block ×4, first 2 shown]
	v_add_f16_e32 v27, v57, v27
	v_add_f16_e32 v26, v59, v26
	v_fmac_f16_e32 v2, 0x3aee, v45
	v_fmac_f16_e32 v51, 0xbaee, v48
	;; [unrolled: 1-line block ×3, first 2 shown]
	v_fmamk_f16 v38, v49, 0x3aee, v53
	v_fmac_f16_e32 v53, 0xbaee, v49
	v_fmac_f16_e32 v6, 0x3aee, v62
	v_fmamk_f16 v41, v60, 0x3aee, v56
	v_fmac_f16_e32 v56, 0xbaee, v60
	ds_write_b16 v4, v32
	ds_write_b16 v4, v7 offset:216
	ds_write_b16 v4, v3 offset:432
	ds_write_b16 v24, v28
	ds_write_b16 v24, v33 offset:216
	ds_write_b16 v24, v2 offset:432
	;; [unrolled: 3-line block ×4, first 2 shown]
	s_waitcnt lgkmcnt(0)
	s_barrier
	buffer_gl0_inv
	ds_read_u16 v23, v15
	ds_read_u16 v28, v15 offset:486
	ds_read_u16 v32, v15 offset:2916
	;; [unrolled: 1-line block ×11, first 2 shown]
	s_waitcnt lgkmcnt(0)
	s_barrier
	buffer_gl0_inv
	ds_write_b16 v4, v29
	ds_write_b16 v4, v30 offset:216
	ds_write_b16 v4, v44 offset:432
	ds_write_b16 v24, v31
	ds_write_b16 v24, v34 offset:216
	ds_write_b16 v24, v51 offset:432
	ds_write_b16 v25, v27
	ds_write_b16 v25, v38 offset:216
	ds_write_b16 v25, v53 offset:432
	ds_write_b16 v39, v26
	ds_write_b16 v39, v41 offset:216
	ds_write_b16 v39, v56 offset:432
	v_and_b32_e32 v24, 0xffff, v42
	v_lshlrev_b32_sdwa v6, v21, v43 dst_sel:DWORD dst_unused:UNUSED_PAD src0_sel:DWORD src1_sel:WORD_0
	s_waitcnt lgkmcnt(0)
	s_barrier
	buffer_gl0_inv
	v_lshlrev_b32_e32 v21, 3, v24
	s_clause 0x3
	global_load_dwordx2 v[2:3], v[0:1], off offset:1272
	global_load_dwordx2 v[4:5], v[36:37], off offset:1272
	global_load_dwordx2 v[6:7], v6, s[12:13] offset:1272
	global_load_dwordx2 v[21:22], v21, s[12:13] offset:1272
	v_cndmask_b32_e64 v25, 0, 0x798, s0
	v_mul_u32_u24_e32 v26, 0x798, v47
	ds_read_u16 v27, v15 offset:1944
	ds_read_u16 v29, v15 offset:3888
	;; [unrolled: 1-line block ×3, first 2 shown]
	v_lshl_add_u32 v34, v24, 1, 0
	v_add3_u32 v12, 0, v25, v12
	ds_read_u16 v25, v15 offset:4374
	v_add3_u32 v31, 0, v26, v20
	ds_read_u16 v20, v15 offset:2916
	ds_read_u16 v24, v15 offset:4860
	;; [unrolled: 1-line block ×5, first 2 shown]
	ds_read_u16 v38, v15
	ds_read_u16 v39, v15 offset:486
	ds_read_u16 v41, v15 offset:972
	s_waitcnt vmcnt(0) lgkmcnt(0)
	s_barrier
	buffer_gl0_inv
	v_mul_f16_sdwa v42, v27, v2 dst_sel:DWORD dst_unused:UNUSED_PAD src0_sel:DWORD src1_sel:WORD_1
	v_mul_f16_sdwa v44, v29, v3 dst_sel:DWORD dst_unused:UNUSED_PAD src0_sel:DWORD src1_sel:WORD_1
	;; [unrolled: 1-line block ×12, first 2 shown]
	v_fmac_f16_e32 v42, v45, v2
	v_fmac_f16_e32 v44, v33, v3
	v_mul_f16_sdwa v53, v40, v4 dst_sel:DWORD dst_unused:UNUSED_PAD src0_sel:DWORD src1_sel:WORD_1
	v_mul_f16_sdwa v55, v48, v5 dst_sel:DWORD dst_unused:UNUSED_PAD src0_sel:DWORD src1_sel:WORD_1
	;; [unrolled: 1-line block ×4, first 2 shown]
	v_fmac_f16_e32 v51, v40, v4
	v_fmac_f16_e32 v54, v48, v5
	v_fmac_f16_e32 v56, v32, v6
	v_fmac_f16_e32 v58, v49, v7
	v_fmac_f16_e32 v60, v35, v21
	v_fmac_f16_e32 v62, v52, v22
	v_fma_f16 v2, v27, v2, -v43
	v_fma_f16 v3, v29, v3, -v47
	;; [unrolled: 1-line block ×4, first 2 shown]
	v_add_f16_e32 v24, v42, v44
	v_fma_f16 v4, v30, v4, -v53
	v_fma_f16 v5, v25, v5, -v55
	;; [unrolled: 1-line block ×4, first 2 shown]
	v_add_f16_e32 v30, v51, v54
	v_add_f16_e32 v40, v56, v58
	v_add_f16_e32 v48, v60, v62
	v_add_f16_e32 v22, v23, v42
	v_sub_f16_e32 v25, v2, v3
	v_add_f16_e32 v26, v38, v2
	v_add_f16_e32 v2, v2, v3
	v_sub_f16_e32 v27, v42, v44
	v_sub_f16_e32 v42, v6, v7
	v_add_f16_e32 v43, v41, v6
	v_add_f16_e32 v6, v6, v7
	v_fmac_f16_e32 v23, -0.5, v24
	v_add_f16_e32 v29, v28, v51
	v_sub_f16_e32 v32, v4, v5
	v_add_f16_e32 v33, v39, v4
	v_add_f16_e32 v4, v4, v5
	v_sub_f16_e32 v35, v51, v54
	v_add_f16_e32 v37, v46, v56
	;; [unrolled: 3-line block ×3, first 2 shown]
	v_add_f16_e32 v20, v20, v21
	v_fmac_f16_e32 v28, -0.5, v30
	v_fmac_f16_e32 v46, -0.5, v40
	;; [unrolled: 1-line block ×3, first 2 shown]
	v_add_f16_e32 v22, v22, v44
	v_fmac_f16_e32 v38, -0.5, v2
	v_fmac_f16_e32 v41, -0.5, v6
	v_fmamk_f16 v6, v25, 0xbaee, v23
	v_fmac_f16_e32 v23, 0x3aee, v25
	v_add_f16_e32 v2, v29, v54
	v_add_f16_e32 v29, v33, v5
	v_fmac_f16_e32 v39, -0.5, v4
	v_add_f16_e32 v4, v37, v58
	v_add_f16_e32 v30, v43, v7
	;; [unrolled: 1-line block ×4, first 2 shown]
	v_fmac_f16_e32 v36, -0.5, v20
	v_fmamk_f16 v7, v32, 0xbaee, v28
	v_fmamk_f16 v20, v42, 0xbaee, v46
	;; [unrolled: 1-line block ×3, first 2 shown]
	v_add_f16_e32 v3, v26, v3
	v_fmamk_f16 v37, v27, 0x3aee, v38
	v_fmac_f16_e32 v38, 0xbaee, v27
	v_fmac_f16_e32 v28, 0x3aee, v32
	;; [unrolled: 1-line block ×4, first 2 shown]
	ds_write_b16 v15, v22
	ds_write_b16 v15, v6 offset:648
	ds_write_b16 v15, v23 offset:1296
	ds_write_b16 v12, v2
	ds_write_b16 v12, v7 offset:648
	ds_write_b16 v12, v28 offset:1296
	;; [unrolled: 3-line block ×3, first 2 shown]
	ds_write_b16 v34, v5 offset:3888
	ds_write_b16 v34, v21 offset:4536
	;; [unrolled: 1-line block ×3, first 2 shown]
	s_waitcnt lgkmcnt(0)
	s_barrier
	buffer_gl0_inv
	ds_read_u16 v24, v15
	ds_read_u16 v4, v15 offset:486
	ds_read_u16 v21, v15 offset:2916
	;; [unrolled: 1-line block ×11, first 2 shown]
	v_sub_f16_e32 v45, v56, v58
	v_sub_f16_e32 v52, v60, v62
	v_fmamk_f16 v32, v35, 0x3aee, v39
	v_fmac_f16_e32 v39, 0xbaee, v35
	s_waitcnt lgkmcnt(0)
	v_fmamk_f16 v35, v45, 0x3aee, v41
	v_fmac_f16_e32 v41, 0xbaee, v45
	v_fmamk_f16 v40, v52, 0x3aee, v36
	v_fmac_f16_e32 v36, 0xbaee, v52
	s_barrier
	buffer_gl0_inv
	ds_write_b16 v15, v3
	ds_write_b16 v15, v37 offset:648
	ds_write_b16 v15, v38 offset:1296
	ds_write_b16 v12, v29
	ds_write_b16 v12, v32 offset:648
	ds_write_b16 v12, v39 offset:1296
	;; [unrolled: 3-line block ×3, first 2 shown]
	ds_write_b16 v34, v33 offset:3888
	ds_write_b16 v34, v40 offset:4536
	;; [unrolled: 1-line block ×3, first 2 shown]
	s_waitcnt lgkmcnt(0)
	s_barrier
	buffer_gl0_inv
	s_and_saveexec_b32 s0, vcc_lo
	s_cbranch_execz .LBB0_15
; %bb.14:
	v_add_co_u32 v0, vcc_lo, 0x800, v0
	v_add_co_ci_u32_e32 v1, vcc_lo, 0, v1, vcc_lo
	v_lshlrev_b32_e32 v12, 1, v18
	v_add_nc_u32_e32 v35, 0xf3, v14
	v_mul_lo_u32 v34, s2, v11
	global_load_dwordx2 v[28:29], v[0:1], off offset:1816
	v_mul_hi_u32 v36, 0x86d90545, v14
	v_lshlrev_b64 v[0:1], 2, v[12:13]
	v_lshlrev_b32_e32 v12, 1, v17
	v_mul_hi_u32 v39, 0x86d90545, v35
	v_add_nc_u32_e32 v37, 0x1e6, v14
	v_add_nc_u32_e32 v38, 0x2d9, v14
	v_lshlrev_b64 v[8:9], 2, v[8:9]
	v_add_co_u32 v0, vcc_lo, s12, v0
	v_add_co_ci_u32_e32 v1, vcc_lo, s13, v1, vcc_lo
	v_lshlrev_b64 v[2:3], 2, v[12:13]
	v_add_co_u32 v0, vcc_lo, 0x800, v0
	v_add_co_ci_u32_e32 v1, vcc_lo, 0, v1, vcc_lo
	v_lshlrev_b32_e32 v12, 1, v16
	v_lshrrev_b32_e32 v36, 9, v36
	v_mul_hi_u32 v40, 0x86d90545, v37
	global_load_dwordx2 v[17:18], v[0:1], off offset:1816
	v_add_co_u32 v0, vcc_lo, s12, v2
	v_add_co_ci_u32_e32 v1, vcc_lo, s13, v3, vcc_lo
	v_lshlrev_b64 v[30:31], 2, v[12:13]
	v_add_co_u32 v0, vcc_lo, 0x800, v0
	v_add_co_ci_u32_e32 v1, vcc_lo, 0, v1, vcc_lo
	v_mul_lo_u32 v12, s3, v10
	v_mul_hi_u32 v41, 0x86d90545, v38
	v_lshrrev_b32_e32 v40, 9, v40
	global_load_dwordx2 v[2:3], v[0:1], off offset:1816
	v_add_co_u32 v0, vcc_lo, s12, v30
	v_add_co_ci_u32_e32 v1, vcc_lo, s13, v31, vcc_lo
	v_mad_u64_u32 v[30:31], null, s2, v10, 0
	v_add_co_u32 v0, vcc_lo, 0x800, v0
	v_add_co_ci_u32_e32 v1, vcc_lo, 0, v1, vcc_lo
	v_lshrrev_b32_e32 v46, 9, v41
	v_mov_b32_e32 v16, v13
	v_add3_u32 v31, v31, v34, v12
	global_load_dwordx2 v[0:1], v[0:1], off offset:1816
	v_lshrrev_b32_e32 v12, 9, v39
	ds_read_u16 v11, v19 offset:1458
	ds_read_u16 v19, v15 offset:5346
	;; [unrolled: 1-line block ×4, first 2 shown]
	ds_read_u16 v49, v15
	v_lshlrev_b64 v[30:31], 2, v[30:31]
	ds_read_u16 v50, v15 offset:3888
	ds_read_u16 v51, v15 offset:3402
	;; [unrolled: 1-line block ×7, first 2 shown]
	v_mul_u32_u24_e32 v15, 0x3cc, v36
	v_mul_u32_u24_e32 v34, 0x3cc, v12
	;; [unrolled: 1-line block ×3, first 2 shown]
	v_mov_b32_e32 v32, v13
	v_add_co_u32 v30, vcc_lo, s10, v30
	v_sub_nc_u32_e32 v14, v14, v15
	v_add_co_ci_u32_e32 v31, vcc_lo, s11, v31, vcc_lo
	v_sub_nc_u32_e32 v34, v35, v34
	v_add_co_u32 v57, vcc_lo, v30, v8
	v_lshlrev_b32_e32 v14, 2, v14
	v_add_co_ci_u32_e32 v58, vcc_lo, v31, v9, vcc_lo
	v_mul_u32_u24_e32 v15, 0x3cc, v40
	v_mad_u32_u24 v12, 0xb64, v12, v34
	v_add_co_u32 v8, vcc_lo, v57, v14
	v_add_co_ci_u32_e32 v9, vcc_lo, 0, v58, vcc_lo
	v_sub_nc_u32_e32 v41, v37, v15
	v_lshlrev_b64 v[30:31], 2, v[12:13]
	v_add_nc_u32_e32 v15, 0x3cc, v12
	v_add_nc_u32_e32 v12, 0x798, v12
	v_add_co_u32 v34, vcc_lo, 0x800, v8
	v_add_co_ci_u32_e32 v35, vcc_lo, 0, v9, vcc_lo
	v_sub_nc_u32_e32 v47, v38, v36
	v_add_co_u32 v36, vcc_lo, 0x1800, v8
	v_lshlrev_b64 v[38:39], 2, v[12:13]
	v_mad_u32_u24 v12, 0xb64, v40, v41
	v_add_co_ci_u32_e32 v37, vcc_lo, 0, v9, vcc_lo
	v_lshlrev_b64 v[14:15], 2, v[15:16]
	v_add_co_u32 v40, vcc_lo, v57, v30
	v_add_co_ci_u32_e32 v41, vcc_lo, v58, v31, vcc_lo
	v_lshlrev_b64 v[42:43], 2, v[12:13]
	v_add_nc_u32_e32 v31, 0x3cc, v12
	v_add_nc_u32_e32 v12, 0x798, v12
	v_add_co_u32 v14, vcc_lo, v57, v14
	v_add_co_ci_u32_e32 v15, vcc_lo, v58, v15, vcc_lo
	v_lshlrev_b64 v[44:45], 2, v[12:13]
	v_mad_u32_u24 v12, 0xb64, v46, v47
	v_add_co_u32 v38, vcc_lo, v57, v38
	v_lshlrev_b64 v[30:31], 2, v[31:32]
	v_add_co_ci_u32_e32 v39, vcc_lo, v58, v39, vcc_lo
	v_add_co_u32 v42, vcc_lo, v57, v42
	v_mov_b32_e32 v33, v13
	v_add_nc_u32_e32 v32, 0x3cc, v12
	v_add_co_ci_u32_e32 v43, vcc_lo, v58, v43, vcc_lo
	v_lshlrev_b64 v[46:47], 2, v[12:13]
	v_add_co_u32 v30, vcc_lo, v57, v30
	v_add_nc_u32_e32 v12, 0x798, v12
	v_add_co_ci_u32_e32 v31, vcc_lo, v58, v31, vcc_lo
	v_add_co_u32 v44, vcc_lo, v57, v44
	v_lshlrev_b64 v[32:33], 2, v[32:33]
	v_add_co_ci_u32_e32 v45, vcc_lo, v58, v45, vcc_lo
	v_lshlrev_b64 v[12:13], 2, v[12:13]
	v_add_co_u32 v46, vcc_lo, v57, v46
	v_add_co_ci_u32_e32 v47, vcc_lo, v58, v47, vcc_lo
	v_add_co_u32 v32, vcc_lo, v57, v32
	v_add_co_ci_u32_e32 v33, vcc_lo, v58, v33, vcc_lo
	;; [unrolled: 2-line block ×3, first 2 shown]
	s_waitcnt vmcnt(3)
	v_mul_f16_sdwa v16, v27, v28 dst_sel:DWORD dst_unused:UNUSED_PAD src0_sel:DWORD src1_sel:WORD_1
	v_mul_f16_sdwa v59, v26, v29 dst_sel:DWORD dst_unused:UNUSED_PAD src0_sel:DWORD src1_sel:WORD_1
	s_waitcnt lgkmcnt(2)
	v_mul_f16_sdwa v60, v54, v28 dst_sel:DWORD dst_unused:UNUSED_PAD src0_sel:DWORD src1_sel:WORD_1
	v_mul_f16_sdwa v61, v50, v29 dst_sel:DWORD dst_unused:UNUSED_PAD src0_sel:DWORD src1_sel:WORD_1
	v_fma_f16 v16, v54, v28, -v16
	v_fma_f16 v50, v50, v29, -v59
	v_fmac_f16_e32 v60, v27, v28
	v_fmac_f16_e32 v61, v26, v29
	v_add_f16_e32 v27, v49, v16
	v_add_f16_e32 v26, v16, v50
	;; [unrolled: 1-line block ×4, first 2 shown]
	v_sub_f16_e32 v29, v60, v61
	v_sub_f16_e32 v16, v16, v50
	v_fma_f16 v26, -0.5, v26, v49
	v_add_f16_e32 v27, v27, v50
	v_fma_f16 v24, -0.5, v28, v24
	v_add_f16_e32 v28, v54, v61
	s_waitcnt vmcnt(2)
	v_mul_f16_sdwa v49, v23, v17 dst_sel:DWORD dst_unused:UNUSED_PAD src0_sel:DWORD src1_sel:WORD_1
	v_mul_f16_sdwa v50, v25, v18 dst_sel:DWORD dst_unused:UNUSED_PAD src0_sel:DWORD src1_sel:WORD_1
	;; [unrolled: 1-line block ×4, first 2 shown]
	v_fmamk_f16 v58, v29, 0xbaee, v26
	v_fmac_f16_e32 v26, 0x3aee, v29
	v_fmamk_f16 v29, v16, 0x3aee, v24
	v_fmac_f16_e32 v24, 0xbaee, v16
	v_pack_b32_f16 v16, v28, v27
	v_fma_f16 v27, v51, v17, -v49
	v_fma_f16 v19, v19, v18, -v50
	v_fmac_f16_e32 v54, v23, v17
	v_fmac_f16_e32 v57, v25, v18
	s_waitcnt vmcnt(1)
	v_mul_f16_sdwa v17, v21, v2 dst_sel:DWORD dst_unused:UNUSED_PAD src0_sel:DWORD src1_sel:WORD_1
	v_mul_f16_sdwa v18, v22, v3 dst_sel:DWORD dst_unused:UNUSED_PAD src0_sel:DWORD src1_sel:WORD_1
	v_mul_f16_sdwa v23, v52, v2 dst_sel:DWORD dst_unused:UNUSED_PAD src0_sel:DWORD src1_sel:WORD_1
	v_mul_f16_sdwa v25, v48, v3 dst_sel:DWORD dst_unused:UNUSED_PAD src0_sel:DWORD src1_sel:WORD_1
	v_pack_b32_f16 v24, v24, v26
	global_store_dword v[8:9], v16, off
	v_add_f16_e32 v8, v27, v19
	v_add_f16_e32 v16, v11, v27
	v_fma_f16 v17, v52, v2, -v17
	v_add_f16_e32 v28, v54, v57
	v_fma_f16 v18, v48, v3, -v18
	v_fmac_f16_e32 v23, v21, v2
	v_fmac_f16_e32 v25, v22, v3
	v_pack_b32_f16 v26, v29, v58
	s_waitcnt vmcnt(0)
	v_mul_f16_sdwa v2, v6, v0 dst_sel:DWORD dst_unused:UNUSED_PAD src0_sel:DWORD src1_sel:WORD_1
	v_mul_f16_sdwa v3, v7, v1 dst_sel:DWORD dst_unused:UNUSED_PAD src0_sel:DWORD src1_sel:WORD_1
	;; [unrolled: 1-line block ×4, first 2 shown]
	v_sub_f16_e32 v9, v54, v57
	global_store_dword v[34:35], v24, off offset:1840
	global_store_dword v[36:37], v26, off offset:1632
	v_fma_f16 v8, -0.5, v8, v11
	v_add_f16_e32 v11, v16, v19
	v_fma_f16 v16, -0.5, v28, v20
	v_sub_f16_e32 v24, v23, v25
	v_add_f16_e32 v28, v23, v25
	v_add_f16_e32 v23, v5, v23
	v_fma_f16 v2, v53, v0, -v2
	v_fma_f16 v3, v10, v1, -v3
	v_fmac_f16_e32 v21, v6, v0
	v_fmac_f16_e32 v22, v7, v1
	v_add_f16_e32 v29, v20, v54
	v_add_f16_e32 v20, v17, v18
	s_waitcnt lgkmcnt(1)
	v_add_f16_e32 v26, v55, v17
	v_fmamk_f16 v0, v9, 0xbaee, v8
	v_fmac_f16_e32 v8, 0x3aee, v9
	v_add_f16_e32 v9, v23, v25
	v_add_f16_e32 v10, v2, v3
	;; [unrolled: 1-line block ×3, first 2 shown]
	v_sub_f16_e32 v27, v27, v19
	v_add_f16_e32 v19, v29, v57
	v_sub_f16_e32 v17, v17, v18
	v_fma_f16 v6, -0.5, v20, v55
	v_add_f16_e32 v7, v26, v18
	v_fma_f16 v5, -0.5, v28, v5
	v_sub_f16_e32 v18, v21, v22
	s_waitcnt lgkmcnt(0)
	v_add_f16_e32 v20, v56, v2
	v_add_f16_e32 v21, v4, v21
	v_sub_f16_e32 v2, v2, v3
	v_fma_f16 v10, -0.5, v10, v56
	v_fma_f16 v4, -0.5, v23, v4
	v_fmamk_f16 v1, v27, 0x3aee, v16
	v_pack_b32_f16 v11, v19, v11
	v_fmamk_f16 v19, v24, 0xbaee, v6
	v_fmac_f16_e32 v6, 0x3aee, v24
	v_fmamk_f16 v24, v17, 0x3aee, v5
	v_fmac_f16_e32 v5, 0xbaee, v17
	v_add_f16_e32 v3, v20, v3
	v_add_f16_e32 v17, v21, v22
	v_fmamk_f16 v20, v18, 0xbaee, v10
	v_fmac_f16_e32 v10, 0x3aee, v18
	v_fmamk_f16 v18, v2, 0x3aee, v4
	v_fmac_f16_e32 v4, 0xbaee, v2
	v_fmac_f16_e32 v16, 0xbaee, v27
	v_pack_b32_f16 v0, v1, v0
	v_pack_b32_f16 v1, v17, v3
	;; [unrolled: 1-line block ×8, first 2 shown]
	global_store_dword v[40:41], v1, off
	global_store_dword v[14:15], v3, off
	;; [unrolled: 1-line block ×9, first 2 shown]
.LBB0_15:
	s_endpgm
	.section	.rodata,"a",@progbits
	.p2align	6, 0x0
	.amdhsa_kernel fft_rtc_back_len2916_factors_6_6_3_3_3_3_wgs_243_tpt_243_halfLds_half_op_CI_CI_unitstride_sbrr_dirReg
		.amdhsa_group_segment_fixed_size 0
		.amdhsa_private_segment_fixed_size 0
		.amdhsa_kernarg_size 104
		.amdhsa_user_sgpr_count 6
		.amdhsa_user_sgpr_private_segment_buffer 1
		.amdhsa_user_sgpr_dispatch_ptr 0
		.amdhsa_user_sgpr_queue_ptr 0
		.amdhsa_user_sgpr_kernarg_segment_ptr 1
		.amdhsa_user_sgpr_dispatch_id 0
		.amdhsa_user_sgpr_flat_scratch_init 0
		.amdhsa_user_sgpr_private_segment_size 0
		.amdhsa_wavefront_size32 1
		.amdhsa_uses_dynamic_stack 0
		.amdhsa_system_sgpr_private_segment_wavefront_offset 0
		.amdhsa_system_sgpr_workgroup_id_x 1
		.amdhsa_system_sgpr_workgroup_id_y 0
		.amdhsa_system_sgpr_workgroup_id_z 0
		.amdhsa_system_sgpr_workgroup_info 0
		.amdhsa_system_vgpr_workitem_id 0
		.amdhsa_next_free_vgpr 64
		.amdhsa_next_free_sgpr 27
		.amdhsa_reserve_vcc 1
		.amdhsa_reserve_flat_scratch 0
		.amdhsa_float_round_mode_32 0
		.amdhsa_float_round_mode_16_64 0
		.amdhsa_float_denorm_mode_32 3
		.amdhsa_float_denorm_mode_16_64 3
		.amdhsa_dx10_clamp 1
		.amdhsa_ieee_mode 1
		.amdhsa_fp16_overflow 0
		.amdhsa_workgroup_processor_mode 1
		.amdhsa_memory_ordered 1
		.amdhsa_forward_progress 0
		.amdhsa_shared_vgpr_count 0
		.amdhsa_exception_fp_ieee_invalid_op 0
		.amdhsa_exception_fp_denorm_src 0
		.amdhsa_exception_fp_ieee_div_zero 0
		.amdhsa_exception_fp_ieee_overflow 0
		.amdhsa_exception_fp_ieee_underflow 0
		.amdhsa_exception_fp_ieee_inexact 0
		.amdhsa_exception_int_div_zero 0
	.end_amdhsa_kernel
	.text
.Lfunc_end0:
	.size	fft_rtc_back_len2916_factors_6_6_3_3_3_3_wgs_243_tpt_243_halfLds_half_op_CI_CI_unitstride_sbrr_dirReg, .Lfunc_end0-fft_rtc_back_len2916_factors_6_6_3_3_3_3_wgs_243_tpt_243_halfLds_half_op_CI_CI_unitstride_sbrr_dirReg
                                        ; -- End function
	.section	.AMDGPU.csdata,"",@progbits
; Kernel info:
; codeLenInByte = 9264
; NumSgprs: 29
; NumVgprs: 64
; ScratchSize: 0
; MemoryBound: 0
; FloatMode: 240
; IeeeMode: 1
; LDSByteSize: 0 bytes/workgroup (compile time only)
; SGPRBlocks: 3
; VGPRBlocks: 7
; NumSGPRsForWavesPerEU: 29
; NumVGPRsForWavesPerEU: 64
; Occupancy: 16
; WaveLimiterHint : 1
; COMPUTE_PGM_RSRC2:SCRATCH_EN: 0
; COMPUTE_PGM_RSRC2:USER_SGPR: 6
; COMPUTE_PGM_RSRC2:TRAP_HANDLER: 0
; COMPUTE_PGM_RSRC2:TGID_X_EN: 1
; COMPUTE_PGM_RSRC2:TGID_Y_EN: 0
; COMPUTE_PGM_RSRC2:TGID_Z_EN: 0
; COMPUTE_PGM_RSRC2:TIDIG_COMP_CNT: 0
	.text
	.p2alignl 6, 3214868480
	.fill 48, 4, 3214868480
	.type	__hip_cuid_a423ebb4a574026e,@object ; @__hip_cuid_a423ebb4a574026e
	.section	.bss,"aw",@nobits
	.globl	__hip_cuid_a423ebb4a574026e
__hip_cuid_a423ebb4a574026e:
	.byte	0                               ; 0x0
	.size	__hip_cuid_a423ebb4a574026e, 1

	.ident	"AMD clang version 19.0.0git (https://github.com/RadeonOpenCompute/llvm-project roc-6.4.0 25133 c7fe45cf4b819c5991fe208aaa96edf142730f1d)"
	.section	".note.GNU-stack","",@progbits
	.addrsig
	.addrsig_sym __hip_cuid_a423ebb4a574026e
	.amdgpu_metadata
---
amdhsa.kernels:
  - .args:
      - .actual_access:  read_only
        .address_space:  global
        .offset:         0
        .size:           8
        .value_kind:     global_buffer
      - .offset:         8
        .size:           8
        .value_kind:     by_value
      - .actual_access:  read_only
        .address_space:  global
        .offset:         16
        .size:           8
        .value_kind:     global_buffer
      - .actual_access:  read_only
        .address_space:  global
        .offset:         24
        .size:           8
        .value_kind:     global_buffer
      - .actual_access:  read_only
        .address_space:  global
        .offset:         32
        .size:           8
        .value_kind:     global_buffer
      - .offset:         40
        .size:           8
        .value_kind:     by_value
      - .actual_access:  read_only
        .address_space:  global
        .offset:         48
        .size:           8
        .value_kind:     global_buffer
      - .actual_access:  read_only
        .address_space:  global
        .offset:         56
        .size:           8
        .value_kind:     global_buffer
      - .offset:         64
        .size:           4
        .value_kind:     by_value
      - .actual_access:  read_only
        .address_space:  global
        .offset:         72
        .size:           8
        .value_kind:     global_buffer
      - .actual_access:  read_only
        .address_space:  global
        .offset:         80
        .size:           8
        .value_kind:     global_buffer
      - .actual_access:  read_only
        .address_space:  global
        .offset:         88
        .size:           8
        .value_kind:     global_buffer
      - .actual_access:  write_only
        .address_space:  global
        .offset:         96
        .size:           8
        .value_kind:     global_buffer
    .group_segment_fixed_size: 0
    .kernarg_segment_align: 8
    .kernarg_segment_size: 104
    .language:       OpenCL C
    .language_version:
      - 2
      - 0
    .max_flat_workgroup_size: 243
    .name:           fft_rtc_back_len2916_factors_6_6_3_3_3_3_wgs_243_tpt_243_halfLds_half_op_CI_CI_unitstride_sbrr_dirReg
    .private_segment_fixed_size: 0
    .sgpr_count:     29
    .sgpr_spill_count: 0
    .symbol:         fft_rtc_back_len2916_factors_6_6_3_3_3_3_wgs_243_tpt_243_halfLds_half_op_CI_CI_unitstride_sbrr_dirReg.kd
    .uniform_work_group_size: 1
    .uses_dynamic_stack: false
    .vgpr_count:     64
    .vgpr_spill_count: 0
    .wavefront_size: 32
    .workgroup_processor_mode: 1
amdhsa.target:   amdgcn-amd-amdhsa--gfx1030
amdhsa.version:
  - 1
  - 2
...

	.end_amdgpu_metadata
